;; amdgpu-corpus repo=ROCm/rocFFT kind=compiled arch=gfx906 opt=O3
	.text
	.amdgcn_target "amdgcn-amd-amdhsa--gfx906"
	.amdhsa_code_object_version 6
	.protected	fft_rtc_back_len850_factors_10_5_17_wgs_85_tpt_85_half_op_CI_CI_sbrr_dirReg ; -- Begin function fft_rtc_back_len850_factors_10_5_17_wgs_85_tpt_85_half_op_CI_CI_sbrr_dirReg
	.globl	fft_rtc_back_len850_factors_10_5_17_wgs_85_tpt_85_half_op_CI_CI_sbrr_dirReg
	.p2align	8
	.type	fft_rtc_back_len850_factors_10_5_17_wgs_85_tpt_85_half_op_CI_CI_sbrr_dirReg,@function
fft_rtc_back_len850_factors_10_5_17_wgs_85_tpt_85_half_op_CI_CI_sbrr_dirReg: ; @fft_rtc_back_len850_factors_10_5_17_wgs_85_tpt_85_half_op_CI_CI_sbrr_dirReg
; %bb.0:
	s_load_dwordx4 s[16:19], s[4:5], 0x18
	s_load_dwordx4 s[12:15], s[4:5], 0x0
	;; [unrolled: 1-line block ×3, first 2 shown]
	v_mul_u32_u24_e32 v1, 0x304, v0
	v_add_u32_sdwa v5, s6, v1 dst_sel:DWORD dst_unused:UNUSED_PAD src0_sel:DWORD src1_sel:WORD_1
	s_waitcnt lgkmcnt(0)
	s_load_dwordx2 s[2:3], s[16:17], 0x0
	s_load_dwordx2 s[20:21], s[18:19], 0x0
	v_cmp_lt_u64_e64 s[0:1], s[14:15], 2
	v_mov_b32_e32 v3, 0
	v_mov_b32_e32 v1, 0
	;; [unrolled: 1-line block ×3, first 2 shown]
	s_and_b64 vcc, exec, s[0:1]
	v_mov_b32_e32 v2, 0
	s_cbranch_vccnz .LBB0_8
; %bb.1:
	s_load_dwordx2 s[0:1], s[4:5], 0x10
	s_add_u32 s6, s18, 8
	s_addc_u32 s7, s19, 0
	s_add_u32 s22, s16, 8
	v_mov_b32_e32 v1, 0
	s_addc_u32 s23, s17, 0
	v_mov_b32_e32 v2, 0
	s_waitcnt lgkmcnt(0)
	s_add_u32 s24, s0, 8
	v_mov_b32_e32 v17, v2
	s_addc_u32 s25, s1, 0
	s_mov_b64 s[26:27], 1
	v_mov_b32_e32 v16, v1
.LBB0_2:                                ; =>This Inner Loop Header: Depth=1
	s_load_dwordx2 s[28:29], s[24:25], 0x0
                                        ; implicit-def: $vgpr18_vgpr19
	s_waitcnt lgkmcnt(0)
	v_or_b32_e32 v4, s29, v6
	v_cmp_ne_u64_e32 vcc, 0, v[3:4]
	s_and_saveexec_b64 s[0:1], vcc
	s_xor_b64 s[30:31], exec, s[0:1]
	s_cbranch_execz .LBB0_4
; %bb.3:                                ;   in Loop: Header=BB0_2 Depth=1
	v_cvt_f32_u32_e32 v4, s28
	v_cvt_f32_u32_e32 v7, s29
	s_sub_u32 s0, 0, s28
	s_subb_u32 s1, 0, s29
	v_mac_f32_e32 v4, 0x4f800000, v7
	v_rcp_f32_e32 v4, v4
	v_mul_f32_e32 v4, 0x5f7ffffc, v4
	v_mul_f32_e32 v7, 0x2f800000, v4
	v_trunc_f32_e32 v7, v7
	v_mac_f32_e32 v4, 0xcf800000, v7
	v_cvt_u32_f32_e32 v7, v7
	v_cvt_u32_f32_e32 v4, v4
	v_mul_lo_u32 v8, s0, v7
	v_mul_hi_u32 v9, s0, v4
	v_mul_lo_u32 v11, s1, v4
	v_mul_lo_u32 v10, s0, v4
	v_add_u32_e32 v8, v9, v8
	v_add_u32_e32 v8, v8, v11
	v_mul_hi_u32 v9, v4, v10
	v_mul_lo_u32 v11, v4, v8
	v_mul_hi_u32 v13, v4, v8
	v_mul_hi_u32 v12, v7, v10
	v_mul_lo_u32 v10, v7, v10
	v_mul_hi_u32 v14, v7, v8
	v_add_co_u32_e32 v9, vcc, v9, v11
	v_addc_co_u32_e32 v11, vcc, 0, v13, vcc
	v_mul_lo_u32 v8, v7, v8
	v_add_co_u32_e32 v9, vcc, v9, v10
	v_addc_co_u32_e32 v9, vcc, v11, v12, vcc
	v_addc_co_u32_e32 v10, vcc, 0, v14, vcc
	v_add_co_u32_e32 v8, vcc, v9, v8
	v_addc_co_u32_e32 v9, vcc, 0, v10, vcc
	v_add_co_u32_e32 v4, vcc, v4, v8
	v_addc_co_u32_e32 v7, vcc, v7, v9, vcc
	v_mul_lo_u32 v8, s0, v7
	v_mul_hi_u32 v9, s0, v4
	v_mul_lo_u32 v10, s1, v4
	v_mul_lo_u32 v11, s0, v4
	v_add_u32_e32 v8, v9, v8
	v_add_u32_e32 v8, v8, v10
	v_mul_lo_u32 v12, v4, v8
	v_mul_hi_u32 v13, v4, v11
	v_mul_hi_u32 v14, v4, v8
	;; [unrolled: 1-line block ×3, first 2 shown]
	v_mul_lo_u32 v11, v7, v11
	v_mul_hi_u32 v9, v7, v8
	v_add_co_u32_e32 v12, vcc, v13, v12
	v_addc_co_u32_e32 v13, vcc, 0, v14, vcc
	v_mul_lo_u32 v8, v7, v8
	v_add_co_u32_e32 v11, vcc, v12, v11
	v_addc_co_u32_e32 v10, vcc, v13, v10, vcc
	v_addc_co_u32_e32 v9, vcc, 0, v9, vcc
	v_add_co_u32_e32 v8, vcc, v10, v8
	v_addc_co_u32_e32 v9, vcc, 0, v9, vcc
	v_add_co_u32_e32 v4, vcc, v4, v8
	v_addc_co_u32_e32 v9, vcc, v7, v9, vcc
	v_mad_u64_u32 v[7:8], s[0:1], v5, v9, 0
	v_mul_hi_u32 v10, v5, v4
	v_add_co_u32_e32 v11, vcc, v10, v7
	v_addc_co_u32_e32 v12, vcc, 0, v8, vcc
	v_mad_u64_u32 v[7:8], s[0:1], v6, v4, 0
	v_mad_u64_u32 v[9:10], s[0:1], v6, v9, 0
	v_add_co_u32_e32 v4, vcc, v11, v7
	v_addc_co_u32_e32 v4, vcc, v12, v8, vcc
	v_addc_co_u32_e32 v7, vcc, 0, v10, vcc
	v_add_co_u32_e32 v4, vcc, v4, v9
	v_addc_co_u32_e32 v9, vcc, 0, v7, vcc
	v_mul_lo_u32 v10, s29, v4
	v_mul_lo_u32 v11, s28, v9
	v_mad_u64_u32 v[7:8], s[0:1], s28, v4, 0
	v_add3_u32 v8, v8, v11, v10
	v_sub_u32_e32 v10, v6, v8
	v_mov_b32_e32 v11, s29
	v_sub_co_u32_e32 v7, vcc, v5, v7
	v_subb_co_u32_e64 v10, s[0:1], v10, v11, vcc
	v_subrev_co_u32_e64 v11, s[0:1], s28, v7
	v_subbrev_co_u32_e64 v10, s[0:1], 0, v10, s[0:1]
	v_cmp_le_u32_e64 s[0:1], s29, v10
	v_cndmask_b32_e64 v12, 0, -1, s[0:1]
	v_cmp_le_u32_e64 s[0:1], s28, v11
	v_cndmask_b32_e64 v11, 0, -1, s[0:1]
	v_cmp_eq_u32_e64 s[0:1], s29, v10
	v_cndmask_b32_e64 v10, v12, v11, s[0:1]
	v_add_co_u32_e64 v11, s[0:1], 2, v4
	v_addc_co_u32_e64 v12, s[0:1], 0, v9, s[0:1]
	v_add_co_u32_e64 v13, s[0:1], 1, v4
	v_addc_co_u32_e64 v14, s[0:1], 0, v9, s[0:1]
	v_subb_co_u32_e32 v8, vcc, v6, v8, vcc
	v_cmp_ne_u32_e64 s[0:1], 0, v10
	v_cmp_le_u32_e32 vcc, s29, v8
	v_cndmask_b32_e64 v10, v14, v12, s[0:1]
	v_cndmask_b32_e64 v12, 0, -1, vcc
	v_cmp_le_u32_e32 vcc, s28, v7
	v_cndmask_b32_e64 v7, 0, -1, vcc
	v_cmp_eq_u32_e32 vcc, s29, v8
	v_cndmask_b32_e32 v7, v12, v7, vcc
	v_cmp_ne_u32_e32 vcc, 0, v7
	v_cndmask_b32_e64 v7, v13, v11, s[0:1]
	v_cndmask_b32_e32 v19, v9, v10, vcc
	v_cndmask_b32_e32 v18, v4, v7, vcc
.LBB0_4:                                ;   in Loop: Header=BB0_2 Depth=1
	s_andn2_saveexec_b64 s[0:1], s[30:31]
	s_cbranch_execz .LBB0_6
; %bb.5:                                ;   in Loop: Header=BB0_2 Depth=1
	v_cvt_f32_u32_e32 v4, s28
	s_sub_i32 s30, 0, s28
	v_mov_b32_e32 v19, v3
	v_rcp_iflag_f32_e32 v4, v4
	v_mul_f32_e32 v4, 0x4f7ffffe, v4
	v_cvt_u32_f32_e32 v4, v4
	v_mul_lo_u32 v7, s30, v4
	v_mul_hi_u32 v7, v4, v7
	v_add_u32_e32 v4, v4, v7
	v_mul_hi_u32 v4, v5, v4
	v_mul_lo_u32 v7, v4, s28
	v_add_u32_e32 v8, 1, v4
	v_sub_u32_e32 v7, v5, v7
	v_subrev_u32_e32 v9, s28, v7
	v_cmp_le_u32_e32 vcc, s28, v7
	v_cndmask_b32_e32 v7, v7, v9, vcc
	v_cndmask_b32_e32 v4, v4, v8, vcc
	v_add_u32_e32 v8, 1, v4
	v_cmp_le_u32_e32 vcc, s28, v7
	v_cndmask_b32_e32 v18, v4, v8, vcc
.LBB0_6:                                ;   in Loop: Header=BB0_2 Depth=1
	s_or_b64 exec, exec, s[0:1]
	v_mul_lo_u32 v4, v19, s28
	v_mul_lo_u32 v9, v18, s29
	v_mad_u64_u32 v[7:8], s[0:1], v18, s28, 0
	s_load_dwordx2 s[0:1], s[22:23], 0x0
	s_load_dwordx2 s[28:29], s[6:7], 0x0
	v_add3_u32 v4, v8, v9, v4
	v_sub_co_u32_e32 v5, vcc, v5, v7
	v_subb_co_u32_e32 v4, vcc, v6, v4, vcc
	s_waitcnt lgkmcnt(0)
	v_mul_lo_u32 v6, s0, v4
	v_mul_lo_u32 v7, s1, v5
	v_mad_u64_u32 v[1:2], s[0:1], s0, v5, v[1:2]
	v_mul_lo_u32 v4, s28, v4
	v_mul_lo_u32 v8, s29, v5
	v_mad_u64_u32 v[16:17], s[0:1], s28, v5, v[16:17]
	s_add_u32 s26, s26, 1
	s_addc_u32 s27, s27, 0
	s_add_u32 s6, s6, 8
	v_add3_u32 v17, v8, v17, v4
	s_addc_u32 s7, s7, 0
	v_mov_b32_e32 v4, s14
	s_add_u32 s22, s22, 8
	v_mov_b32_e32 v5, s15
	s_addc_u32 s23, s23, 0
	v_cmp_ge_u64_e32 vcc, s[26:27], v[4:5]
	s_add_u32 s24, s24, 8
	v_add3_u32 v2, v7, v2, v6
	s_addc_u32 s25, s25, 0
	s_cbranch_vccnz .LBB0_9
; %bb.7:                                ;   in Loop: Header=BB0_2 Depth=1
	v_mov_b32_e32 v5, v18
	v_mov_b32_e32 v6, v19
	s_branch .LBB0_2
.LBB0_8:
	v_mov_b32_e32 v17, v2
	v_mov_b32_e32 v19, v6
	;; [unrolled: 1-line block ×4, first 2 shown]
.LBB0_9:
	s_load_dwordx2 s[0:1], s[4:5], 0x28
	s_lshl_b64 s[14:15], s[14:15], 3
	s_add_u32 s4, s18, s14
	s_addc_u32 s5, s19, s15
                                        ; implicit-def: $vgpr38
                                        ; implicit-def: $vgpr3
	s_waitcnt lgkmcnt(0)
	v_cmp_gt_u64_e32 vcc, s[0:1], v[18:19]
	v_cmp_le_u64_e64 s[0:1], s[0:1], v[18:19]
	s_and_saveexec_b64 s[6:7], s[0:1]
	s_xor_b64 s[0:1], exec, s[6:7]
; %bb.10:
	s_mov_b32 s6, 0x3030304
	v_mul_hi_u32 v1, v0, s6
	v_mul_u32_u24_e32 v1, 0x55, v1
	v_sub_u32_e32 v38, v0, v1
	v_add_u32_e32 v3, 0x55, v38
                                        ; implicit-def: $vgpr0
                                        ; implicit-def: $vgpr1_vgpr2
; %bb.11:
	s_or_saveexec_b64 s[6:7], s[0:1]
                                        ; implicit-def: $vgpr4
                                        ; implicit-def: $vgpr5
                                        ; implicit-def: $vgpr6
                                        ; implicit-def: $vgpr7
                                        ; implicit-def: $vgpr8
                                        ; implicit-def: $vgpr10
                                        ; implicit-def: $vgpr9
                                        ; implicit-def: $vgpr11
                                        ; implicit-def: $vgpr12
                                        ; implicit-def: $vgpr13
	s_xor_b64 exec, exec, s[6:7]
	s_cbranch_execz .LBB0_13
; %bb.12:
	s_add_u32 s0, s16, s14
	s_mov_b32 s14, 0x3030304
	v_mul_hi_u32 v3, v0, s14
	s_addc_u32 s1, s17, s15
	s_load_dwordx2 s[0:1], s[0:1], 0x0
	v_mul_u32_u24_e32 v3, 0x55, v3
	v_sub_u32_e32 v38, v0, v3
	v_mad_u64_u32 v[4:5], s[14:15], s2, v38, 0
	s_waitcnt lgkmcnt(0)
	v_mul_lo_u32 v3, s1, v18
	v_mul_lo_u32 v10, s0, v19
	v_mad_u64_u32 v[6:7], s[0:1], s0, v18, 0
	v_mov_b32_e32 v0, v5
	v_mad_u64_u32 v[8:9], s[0:1], s3, v38, v[0:1]
	v_add3_u32 v7, v7, v10, v3
	v_lshlrev_b64 v[6:7], 2, v[6:7]
	v_mov_b32_e32 v5, v8
	v_mov_b32_e32 v0, s9
	v_add_co_u32_e64 v8, s[0:1], s8, v6
	v_add_u32_e32 v3, 0x55, v38
	v_addc_co_u32_e64 v9, s[0:1], v0, v7, s[0:1]
	v_mad_u64_u32 v[6:7], s[0:1], s2, v3, 0
	v_lshlrev_b64 v[0:1], 2, v[1:2]
	v_add_u32_e32 v10, 0xaa, v38
	v_add_co_u32_e64 v12, s[0:1], v8, v0
	v_mov_b32_e32 v2, v7
	v_addc_co_u32_e64 v13, s[0:1], v9, v1, s[0:1]
	v_lshlrev_b64 v[0:1], 2, v[4:5]
	v_mad_u64_u32 v[4:5], s[0:1], s3, v3, v[2:3]
	v_mad_u64_u32 v[8:9], s[0:1], s2, v10, 0
	v_add_co_u32_e64 v0, s[0:1], v12, v0
	v_mov_b32_e32 v7, v4
	v_mov_b32_e32 v2, v9
	v_addc_co_u32_e64 v1, s[0:1], v13, v1, s[0:1]
	v_lshlrev_b64 v[4:5], 2, v[6:7]
	v_mad_u64_u32 v[6:7], s[0:1], s3, v10, v[2:3]
	v_add_u32_e32 v7, 0xff, v38
	v_mad_u64_u32 v[10:11], s[0:1], s2, v7, 0
	v_add_co_u32_e64 v14, s[0:1], v12, v4
	v_mov_b32_e32 v9, v6
	v_mov_b32_e32 v2, v11
	v_addc_co_u32_e64 v15, s[0:1], v13, v5, s[0:1]
	v_lshlrev_b64 v[4:5], 2, v[8:9]
	v_mad_u64_u32 v[6:7], s[0:1], s3, v7, v[2:3]
	v_add_u32_e32 v9, 0x154, v38
	v_mad_u64_u32 v[7:8], s[0:1], s2, v9, 0
	v_add_co_u32_e64 v20, s[0:1], v12, v4
	v_mov_b32_e32 v2, v8
	v_addc_co_u32_e64 v21, s[0:1], v13, v5, s[0:1]
	v_mov_b32_e32 v11, v6
	v_mad_u64_u32 v[8:9], s[0:1], s3, v9, v[2:3]
	v_add_u32_e32 v6, 0x1a9, v38
	v_lshlrev_b64 v[4:5], 2, v[10:11]
	v_mad_u64_u32 v[9:10], s[0:1], s2, v6, 0
	v_add_co_u32_e64 v22, s[0:1], v12, v4
	v_mov_b32_e32 v2, v10
	v_addc_co_u32_e64 v23, s[0:1], v13, v5, s[0:1]
	v_lshlrev_b64 v[4:5], 2, v[7:8]
	v_mad_u64_u32 v[6:7], s[0:1], s3, v6, v[2:3]
	v_add_u32_e32 v11, 0x1fe, v38
	v_mad_u64_u32 v[7:8], s[0:1], s2, v11, 0
	v_add_co_u32_e64 v24, s[0:1], v12, v4
	v_mov_b32_e32 v10, v6
	v_mov_b32_e32 v2, v8
	v_addc_co_u32_e64 v25, s[0:1], v13, v5, s[0:1]
	v_lshlrev_b64 v[4:5], 2, v[9:10]
	v_mad_u64_u32 v[8:9], s[0:1], s3, v11, v[2:3]
	v_add_u32_e32 v6, 0x253, v38
	v_mad_u64_u32 v[9:10], s[0:1], s2, v6, 0
	v_add_co_u32_e64 v26, s[0:1], v12, v4
	v_mov_b32_e32 v2, v10
	v_addc_co_u32_e64 v27, s[0:1], v13, v5, s[0:1]
	v_lshlrev_b64 v[4:5], 2, v[7:8]
	v_mad_u64_u32 v[6:7], s[0:1], s3, v6, v[2:3]
	v_add_u32_e32 v11, 0x2a8, v38
	v_mad_u64_u32 v[7:8], s[0:1], s2, v11, 0
	v_add_co_u32_e64 v28, s[0:1], v12, v4
	v_mov_b32_e32 v10, v6
	v_mov_b32_e32 v2, v8
	v_addc_co_u32_e64 v29, s[0:1], v13, v5, s[0:1]
	v_lshlrev_b64 v[4:5], 2, v[9:10]
	v_mad_u64_u32 v[8:9], s[0:1], s3, v11, v[2:3]
	v_add_u32_e32 v6, 0x2fd, v38
	v_mad_u64_u32 v[9:10], s[0:1], s2, v6, 0
	v_add_co_u32_e64 v30, s[0:1], v12, v4
	v_mov_b32_e32 v2, v10
	v_addc_co_u32_e64 v31, s[0:1], v13, v5, s[0:1]
	v_lshlrev_b64 v[4:5], 2, v[7:8]
	v_mad_u64_u32 v[6:7], s[0:1], s3, v6, v[2:3]
	v_add_co_u32_e64 v32, s[0:1], v12, v4
	v_mov_b32_e32 v10, v6
	v_addc_co_u32_e64 v33, s[0:1], v13, v5, s[0:1]
	v_lshlrev_b64 v[4:5], 2, v[9:10]
	v_add_co_u32_e64 v34, s[0:1], v12, v4
	v_addc_co_u32_e64 v35, s[0:1], v13, v5, s[0:1]
	global_load_dword v4, v[0:1], off
	global_load_dword v10, v[14:15], off
	;; [unrolled: 1-line block ×10, first 2 shown]
.LBB0_13:
	s_or_b64 exec, exec, s[6:7]
	s_waitcnt vmcnt(2)
	v_add_f16_e32 v0, v11, v12
	v_pk_add_f16 v24, v6, v7 neg_lo:[0,1] neg_hi:[0,1]
	s_waitcnt vmcnt(1)
	v_pk_add_f16 v25, v5, v8
	s_movk_i32 s0, 0x3b9c
	v_fma_f16 v14, v0, -0.5, v10
	v_pk_add_f16 v0, v9, v11 neg_lo:[0,1] neg_hi:[0,1]
	s_waitcnt vmcnt(0)
	v_pk_add_f16 v15, v13, v12 neg_lo:[0,1] neg_hi:[0,1]
	v_pk_add_f16 v23, v5, v8 neg_lo:[0,1] neg_hi:[0,1]
	v_pk_fma_f16 v25, v25, 0.5, v4 op_sel_hi:[1,0,1] neg_lo:[1,0,0] neg_hi:[1,0,0]
	v_pk_mul_f16 v26, v24, s0 op_sel_hi:[1,0]
	s_movk_i32 s1, 0x38b4
	v_pk_add_f16 v29, v6, v5 neg_lo:[0,1] neg_hi:[0,1]
	v_pk_add_f16 v30, v7, v8 neg_lo:[0,1] neg_hi:[0,1]
	v_pk_add_f16 v15, v0, v15
	v_pk_add_f16 v27, v26, v25 op_sel:[1,0] op_sel_hi:[0,1]
	v_pk_mul_f16 v28, v23, s1 op_sel_hi:[1,0]
	v_pk_add_f16 v29, v29, v30
	v_pk_add_f16 v25, v25, v26 op_sel:[0,1] op_sel_hi:[1,0] neg_lo:[0,1] neg_hi:[0,1]
	v_pk_add_f16 v26, v9, v13 neg_lo:[0,1] neg_hi:[0,1]
	v_pk_add_f16 v30, v11, v12 neg_lo:[0,1] neg_hi:[0,1]
	s_mov_b32 s7, 0xffff
	v_lshrrev_b32_e32 v21, 16, v15
	v_pk_add_f16 v27, v27, v28 op_sel:[0,1] op_sel_hi:[1,0] neg_lo:[0,1] neg_hi:[0,1]
	s_movk_i32 s2, 0x34f2
	v_pk_add_f16 v25, v28, v25 op_sel:[1,0] op_sel_hi:[0,1]
	v_lshrrev_b32_e32 v28, 16, v26
	s_mov_b32 s3, 0xbb9c
	v_bfi_b32 v15, s7, v15, v30
	s_mov_b32 s6, 0x38b434f2
	v_add_f16_sdwa v0, v11, v12 dst_sel:DWORD dst_unused:UNUSED_PAD src0_sel:WORD_1 src1_sel:WORD_1
	v_lshrrev_b32_e32 v20, 16, v10
	v_pk_fma_f16 v27, v29, s2, v27 op_sel_hi:[1,0,1]
	v_pk_fma_f16 v25, v29, s2, v25 op_sel_hi:[1,0,1]
	v_fma_f16 v29, v28, s3, v14
	v_pk_mul_f16 v15, v15, s6
	v_fma_f16 v14, v28, s0, v14
	v_fma_f16 v20, v0, -0.5, v20
	v_sub_f16_sdwa v29, v29, v15 dst_sel:DWORD dst_unused:UNUSED_PAD src0_sel:DWORD src1_sel:WORD_1
	v_add_f16_sdwa v14, v15, v14 dst_sel:DWORD dst_unused:UNUSED_PAD src0_sel:WORD_1 src1_sel:DWORD
	v_add_f16_e32 v29, v15, v29
	v_add_f16_e32 v14, v15, v14
	v_fma_f16 v15, v26, s0, v20
	v_fma_f16 v20, v26, s3, v20
	s_mov_b32 s6, 0xb8b4
	v_fma_f16 v15, v30, s1, v15
	v_fma_f16 v20, v30, s6, v20
	;; [unrolled: 1-line block ×4, first 2 shown]
	v_pk_add_f16 v21, v9, v13
	v_pk_add_f16 v2, v10, v9
	v_pk_fma_f16 v10, v21, 0.5, v10 op_sel_hi:[1,0,1] neg_lo:[1,0,0] neg_hi:[1,0,0]
	v_pk_mul_f16 v21, v30, s0 op_sel_hi:[1,0]
	v_pk_add_f16 v2, v2, v11
	v_pk_add_f16 v28, v10, v21 op_sel:[0,1] op_sel_hi:[1,0] neg_lo:[0,1] neg_hi:[0,1]
	v_pk_mul_f16 v26, v26, s1 op_sel_hi:[1,0]
	v_pk_add_f16 v9, v11, v9 neg_lo:[0,1] neg_hi:[0,1]
	v_pk_add_f16 v11, v12, v13 neg_lo:[0,1] neg_hi:[0,1]
	v_pk_add_f16 v10, v21, v10 op_sel:[1,0] op_sel_hi:[0,1]
	v_pk_add_f16 v28, v26, v28 op_sel:[1,0] op_sel_hi:[0,1]
	v_pk_add_f16 v9, v9, v11
	v_pk_add_f16 v10, v10, v26 op_sel:[0,1] op_sel_hi:[1,0] neg_lo:[0,1] neg_hi:[0,1]
	v_pk_fma_f16 v11, v9, s2, v28 op_sel_hi:[1,0,1]
	v_pk_fma_f16 v9, v9, s2, v10 op_sel_hi:[1,0,1]
	v_mul_f16_e32 v10, 0xb8b4, v15
	s_movk_i32 s8, 0x3a79
	v_fma_f16 v10, v29, s8, v10
	v_pk_mul_f16 v21, v9, s0 op_sel_hi:[1,0]
	s_mov_b32 s8, 0x34f2b4f2
	v_pk_add_f16 v2, v2, v12
	v_mul_f16_sdwa v12, v11, s3 dst_sel:DWORD dst_unused:UNUSED_PAD src0_sel:WORD_1 src1_sel:DWORD
	v_pk_fma_f16 v26, v11, s8, v21 op_sel:[0,0,1] op_sel_hi:[1,1,0]
	v_pk_fma_f16 v21, v11, s8, v21 op_sel:[0,0,1] op_sel_hi:[1,1,0] neg_lo:[0,0,1] neg_hi:[0,0,1]
	s_mov_b32 s8, 0xb4f2
	v_fma_f16 v12, v9, s2, v12
	v_mul_f16_sdwa v9, v9, s8 dst_sel:DWORD dst_unused:UNUSED_PAD src0_sel:WORD_1 src1_sel:DWORD
	v_bfi_b32 v28, s7, v21, v26
	v_fma_f16 v9, v11, s0, v9
	v_mul_u32_u24_e32 v0, 10, v38
	v_pk_add_f16 v2, v2, v13
	v_add_f16_e32 v13, v27, v12
	v_pk_add_f16 v28, v25, v28
	v_add_f16_sdwa v11, v27, v9 dst_sel:DWORD dst_unused:UNUSED_PAD src0_sel:WORD_1 src1_sel:DWORD
	v_pk_add_f16 v1, v4, v5
	v_lshl_add_u32 v0, v0, 2, 0
	v_bfi_b32 v13, s7, v13, v28
	v_pack_b32_f16 v11, v28, v11
	v_pk_add_f16 v1, v1, v6
	ds_write2_b32 v0, v13, v11 offset0:2 offset1:3
	v_pk_add_f16 v11, v6, v7
	v_pk_add_f16 v1, v1, v7
	v_pk_fma_f16 v4, v11, 0.5, v4 op_sel_hi:[1,0,1] neg_lo:[1,0,0] neg_hi:[1,0,0]
	v_pk_add_f16 v5, v5, v6 neg_lo:[0,1] neg_hi:[0,1]
	v_pk_add_f16 v6, v8, v7 neg_lo:[0,1] neg_hi:[0,1]
	v_pk_mul_f16 v7, v23, s0 op_sel_hi:[1,0]
	v_pk_add_f16 v1, v1, v8
	v_pk_add_f16 v5, v5, v6
	v_pk_add_f16 v8, v4, v7 op_sel:[0,1] op_sel_hi:[1,0] neg_lo:[0,1] neg_hi:[0,1]
	v_pk_mul_f16 v11, v24, s1 op_sel_hi:[1,0]
	v_pk_add_f16 v4, v4, v7 op_sel:[0,1] op_sel_hi:[1,0]
	v_pk_mul_f16 v6, v5, s2 op_sel_hi:[1,0]
	v_pk_add_f16 v8, v8, v11 op_sel:[0,1] op_sel_hi:[1,0] neg_lo:[0,1] neg_hi:[0,1]
	v_pk_add_f16 v4, v11, v4 op_sel:[1,0] op_sel_hi:[0,1]
	s_mov_b32 s9, 0xba79b8b4
	v_add_f16_e32 v13, v6, v8
	v_add_f16_sdwa v6, v6, v4 dst_sel:DWORD dst_unused:UNUSED_PAD src0_sel:WORD_1 src1_sel:WORD_1
	v_bfi_b32 v4, s7, v4, v8
	s_mov_b32 s8, 0x38b4ba79
	v_pk_mul_f16 v8, v20, s9 op_sel_hi:[0,1]
	v_mul_f16_e32 v15, 0x3a79, v15
	v_pk_fma_f16 v4, v5, s2, v4 op_sel_hi:[1,0,1]
	v_pk_fma_f16 v8, v14, s8, v8 op_sel_hi:[0,1,1]
	v_pk_add_f16 v22, v1, v2
	v_fma_f16 v15, v29, s1, v15
	v_pk_add_f16 v11, v4, v8
	v_pk_add_f16 v1, v1, v2 neg_lo:[0,1] neg_hi:[0,1]
	v_add_f16_e32 v5, v13, v10
	v_add_f16_e32 v7, v6, v15
	v_sub_f16_e32 v10, v13, v10
	v_sub_f16_e32 v6, v6, v15
	ds_write2_b32 v0, v11, v1 offset0:4 offset1:5
	v_bfi_b32 v1, s7, v27, v25
	v_bfi_b32 v2, s7, v12, v26
	v_pk_add_f16 v1, v1, v2 neg_lo:[0,1] neg_hi:[0,1]
	v_pack_b32_f16 v2, v10, v6
	ds_write2_b32 v0, v2, v1 offset0:6 offset1:7
	v_alignbit_b32 v1, v4, v27, 16
	v_pack_b32_f16 v2, v9, v8
	v_pk_add_f16 v21, v25, v21 neg_lo:[0,1] neg_hi:[0,1]
	v_pk_add_f16 v13, v4, v8 neg_lo:[0,1] neg_hi:[0,1]
	;; [unrolled: 1-line block ×3, first 2 shown]
	s_mov_b32 s7, 0x7060302
	v_perm_b32 v2, v13, v1, s7
	v_pack_b32_f16 v1, v21, v1
	s_movk_i32 s7, 0xcd
	ds_write2_b32 v0, v1, v2 offset0:8 offset1:9
	v_mul_lo_u16_sdwa v2, v3, s7 dst_sel:DWORD dst_unused:UNUSED_PAD src0_sel:BYTE_0 src1_sel:DWORD
	v_lshrrev_b16_e32 v30, 11, v2
	v_mul_lo_u16_e32 v2, 10, v30
	v_mov_b32_e32 v1, 4
	v_sub_u16_e32 v20, v3, v2
	v_pack_b32_f16 v5, v5, v7
	v_lshlrev_b32_sdwa v2, v1, v20 dst_sel:DWORD dst_unused:UNUSED_PAD src0_sel:DWORD src1_sel:BYTE_0
	s_load_dwordx2 s[4:5], s[4:5], 0x0
	ds_write2_b32 v0, v22, v5 offset1:1
	s_waitcnt lgkmcnt(0)
	s_barrier
	global_load_dwordx4 v[4:7], v2, s[12:13]
	v_mul_lo_u16_sdwa v2, v38, s7 dst_sel:DWORD dst_unused:UNUSED_PAD src0_sel:BYTE_0 src1_sel:DWORD
	v_lshrrev_b16_e32 v31, 11, v2
	v_mul_lo_u16_e32 v2, 10, v31
	v_sub_u16_e32 v21, v38, v2
	v_lshlrev_b32_sdwa v1, v1, v21 dst_sel:DWORD dst_unused:UNUSED_PAD src0_sel:DWORD src1_sel:BYTE_0
	global_load_dwordx4 v[8:11], v1, s[12:13]
	s_movk_i32 s7, 0xffdc
	v_mad_i32_i24 v22, v38, s7, v0
	v_add_u32_e32 v1, 0x400, v22
	v_add_u32_e32 v12, 0x800, v22
	;; [unrolled: 1-line block ×3, first 2 shown]
	ds_read2_b32 v[1:2], v1 offset0:169 offset1:254
	ds_read2_b32 v[12:13], v12 offset0:83 offset1:168
	;; [unrolled: 1-line block ×3, first 2 shown]
	ds_read_b32 v23, v22 offset:3060
	v_lshl_add_u32 v3, v3, 2, 0
	ds_read_b32 v3, v3
	s_waitcnt lgkmcnt(4)
	v_lshrrev_b32_e32 v24, 16, v1
	s_waitcnt lgkmcnt(2)
	v_lshrrev_b32_e32 v27, 16, v14
	v_lshrrev_b32_e32 v25, 16, v12
	s_waitcnt lgkmcnt(1)
	v_lshrrev_b32_e32 v26, 16, v23
                                        ; implicit-def: $vgpr56
                                        ; implicit-def: $vgpr51
                                        ; implicit-def: $vgpr53
                                        ; implicit-def: $vgpr54
                                        ; implicit-def: $vgpr55
                                        ; implicit-def: $vgpr52
                                        ; implicit-def: $vgpr50
                                        ; implicit-def: $vgpr49
	s_waitcnt vmcnt(1)
	v_mul_f16_sdwa v28, v4, v27 dst_sel:DWORD dst_unused:UNUSED_PAD src0_sel:WORD_1 src1_sel:DWORD
	v_fma_f16 v32, v4, v14, v28
	v_mul_f16_sdwa v14, v4, v14 dst_sel:DWORD dst_unused:UNUSED_PAD src0_sel:WORD_1 src1_sel:DWORD
	v_fma_f16 v4, v4, v27, -v14
	v_mul_f16_sdwa v14, v24, v5 dst_sel:DWORD dst_unused:UNUSED_PAD src0_sel:DWORD src1_sel:WORD_1
	v_fma_f16 v14, v1, v5, v14
	v_mul_f16_sdwa v1, v1, v5 dst_sel:DWORD dst_unused:UNUSED_PAD src0_sel:DWORD src1_sel:WORD_1
	v_fma_f16 v5, v24, v5, -v1
	v_mul_f16_sdwa v1, v25, v6 dst_sel:DWORD dst_unused:UNUSED_PAD src0_sel:DWORD src1_sel:WORD_1
	v_fma_f16 v33, v12, v6, v1
	v_mul_f16_sdwa v1, v12, v6 dst_sel:DWORD dst_unused:UNUSED_PAD src0_sel:DWORD src1_sel:WORD_1
	;; [unrolled: 4-line block ×3, first 2 shown]
	v_fma_f16 v7, v26, v7, -v1
	v_lshrrev_b32_e32 v1, 16, v15
	s_waitcnt vmcnt(0)
	v_mul_f16_sdwa v23, v9, v1 dst_sel:DWORD dst_unused:UNUSED_PAD src0_sel:WORD_1 src1_sel:DWORD
	v_fma_f16 v28, v9, v15, v23
	v_mul_f16_sdwa v15, v9, v15 dst_sel:DWORD dst_unused:UNUSED_PAD src0_sel:WORD_1 src1_sel:DWORD
	v_fma_f16 v9, v9, v1, -v15
	v_lshrrev_b32_e32 v1, 16, v2
	v_mul_f16_sdwa v15, v10, v1 dst_sel:DWORD dst_unused:UNUSED_PAD src0_sel:WORD_1 src1_sel:DWORD
	v_fma_f16 v15, v10, v2, v15
	v_mul_f16_sdwa v2, v10, v2 dst_sel:DWORD dst_unused:UNUSED_PAD src0_sel:WORD_1 src1_sel:DWORD
	v_fma_f16 v10, v10, v1, -v2
	ds_read2_b32 v[1:2], v22 offset1:170
	v_lshrrev_b32_e32 v23, 16, v13
	v_mul_f16_sdwa v22, v11, v23 dst_sel:DWORD dst_unused:UNUSED_PAD src0_sel:WORD_1 src1_sel:DWORD
	v_fma_f16 v29, v11, v13, v22
	v_mul_f16_sdwa v13, v11, v13 dst_sel:DWORD dst_unused:UNUSED_PAD src0_sel:WORD_1 src1_sel:DWORD
	v_fma_f16 v11, v11, v23, -v13
	s_waitcnt lgkmcnt(0)
	v_lshrrev_b32_e32 v13, 16, v2
	v_mul_f16_sdwa v22, v8, v2 dst_sel:DWORD dst_unused:UNUSED_PAD src0_sel:WORD_1 src1_sel:DWORD
	v_fma_f16 v34, v8, v13, -v22
	v_mul_f16_sdwa v13, v8, v13 dst_sel:DWORD dst_unused:UNUSED_PAD src0_sel:WORD_1 src1_sel:DWORD
	v_fma_f16 v2, v8, v2, v13
	v_sub_f16_e32 v13, v28, v2
	v_sub_f16_e32 v22, v15, v29
	v_add_f16_e32 v13, v13, v22
	v_add_f16_e32 v22, v2, v29
	v_fma_f16 v22, v22, -0.5, v1
	v_sub_f16_e32 v35, v9, v10
	v_sub_f16_e32 v8, v34, v11
	v_fma_f16 v23, v35, s0, v22
	v_fma_f16 v22, v35, s3, v22
	;; [unrolled: 1-line block ×6, first 2 shown]
	v_sub_f16_e32 v13, v32, v14
	v_sub_f16_e32 v24, v12, v33
	v_add_f16_e32 v13, v13, v24
	v_sub_f16_e32 v24, v14, v32
	v_sub_f16_e32 v25, v33, v12
	v_add_f16_e32 v26, v24, v25
	v_add_f16_e32 v24, v14, v33
	v_fma_f16 v27, v24, -0.5, v3
	v_sub_f16_e32 v36, v4, v7
	v_add_f16_e32 v25, v32, v12
	v_fma_f16 v24, v36, s3, v27
	v_sub_f16_e32 v37, v5, v6
	v_fma_f16 v39, v25, -0.5, v3
	v_fma_f16 v27, v36, s0, v27
	v_fma_f16 v24, v37, s6, v24
	v_fma_f16 v25, v37, s0, v39
	v_fma_f16 v27, v37, s1, v27
	v_fma_f16 v37, v37, s3, v39
	v_fma_f16 v25, v36, s6, v25
	v_fma_f16 v24, v13, s2, v24
	v_fma_f16 v36, v36, s1, v37
	v_fma_f16 v27, v13, s2, v27
	v_mov_b32_e32 v13, 2
	v_fma_f16 v25, v26, s2, v25
	v_fma_f16 v26, v26, s2, v36
	v_lshlrev_b32_sdwa v36, v13, v21 dst_sel:DWORD dst_unused:UNUSED_PAD src0_sel:DWORD src1_sel:BYTE_0
	v_lshlrev_b32_sdwa v13, v13, v20 dst_sel:DWORD dst_unused:UNUSED_PAD src0_sel:DWORD src1_sel:BYTE_0
	v_add_f16_e32 v20, v28, v15
	v_fma_f16 v37, v20, -0.5, v1
	v_lshrrev_b32_e32 v39, 16, v1
	v_add_f16_e32 v1, v1, v2
	v_sub_f16_e32 v20, v2, v28
	v_sub_f16_e32 v21, v29, v15
	v_add_f16_e32 v1, v1, v28
	v_add_f16_e32 v44, v20, v21
	;; [unrolled: 1-line block ×3, first 2 shown]
	v_fma_f16 v20, v8, s3, v37
	v_fma_f16 v21, v35, s6, v20
	v_add_f16_e32 v20, v1, v29
	v_fma_f16 v1, v8, s0, v37
	v_sub_f16_e32 v8, v28, v15
	v_sub_f16_e32 v15, v34, v9
	;; [unrolled: 1-line block ×3, first 2 shown]
	v_add_f16_e32 v15, v15, v28
	v_add_f16_e32 v28, v9, v10
	v_sub_f16_e32 v2, v2, v29
	v_fma_f16 v28, v28, -0.5, v39
	v_fma_f16 v29, v2, s0, v28
	v_fma_f16 v28, v2, s3, v28
	;; [unrolled: 1-line block ×5, first 2 shown]
	v_add_f16_e32 v28, v39, v34
	v_fma_f16 v40, v15, s2, v29
	v_add_f16_e32 v15, v34, v11
	v_add_f16_e32 v28, v28, v9
	v_fma_f16 v15, v15, -0.5, v39
	v_sub_f16_e32 v9, v9, v34
	v_add_f16_e32 v28, v28, v10
	v_sub_f16_e32 v10, v10, v11
	v_fma_f16 v1, v35, s1, v1
	v_add_f16_e32 v9, v9, v10
	v_fma_f16 v10, v8, s3, v15
	v_fma_f16 v8, v8, s0, v15
	v_add_f16_e32 v39, v28, v11
	v_fma_f16 v10, v2, s1, v10
	v_fma_f16 v2, v2, s6, v8
	;; [unrolled: 1-line block ×3, first 2 shown]
	v_add_f16_e32 v1, v3, v32
	v_fma_f16 v42, v9, s2, v10
	v_fma_f16 v43, v9, s2, v2
	v_add_f16_e32 v1, v1, v14
	v_sub_f16_e32 v8, v4, v5
	v_sub_f16_e32 v9, v7, v6
	v_add_f16_e32 v1, v1, v33
	v_add_f16_e32 v8, v8, v9
	v_lshrrev_b32_e32 v3, 16, v3
	v_add_f16_e32 v9, v5, v6
	v_add_f16_e32 v29, v1, v12
	v_sub_f16_e32 v1, v32, v12
	v_fma_f16 v9, v9, -0.5, v3
	v_sub_f16_e32 v2, v14, v33
	v_fma_f16 v10, v1, s0, v9
	v_fma_f16 v9, v1, s3, v9
	;; [unrolled: 1-line block ×7, first 2 shown]
	v_add_f16_e32 v8, v4, v7
	v_fma_f16 v8, v8, -0.5, v3
	v_add_f16_e32 v3, v3, v4
	v_add_f16_e32 v3, v3, v5
	;; [unrolled: 1-line block ×3, first 2 shown]
	v_sub_f16_e32 v4, v5, v4
	v_add_f16_e32 v47, v3, v7
	v_sub_f16_e32 v3, v6, v7
	v_add_f16_e32 v3, v4, v3
	v_fma_f16 v4, v2, s3, v8
	v_fma_f16 v2, v2, s0, v8
	;; [unrolled: 1-line block ×5, first 2 shown]
	v_mul_u32_u24_e32 v1, 0xc8, v31
	v_fma_f16 v48, v3, s2, v4
	v_add3_u32 v1, 0, v1, v36
	v_pack_b32_f16 v2, v20, v39
	v_pack_b32_f16 v3, v21, v40
	s_barrier
	ds_write2_b32 v1, v2, v3 offset1:10
	v_pack_b32_f16 v2, v22, v42
	v_pack_b32_f16 v3, v23, v43
	ds_write2_b32 v1, v2, v3 offset0:20 offset1:30
	v_pack_b32_f16 v2, v28, v41
	ds_write_b32 v1, v2 offset:160
	v_mul_u32_u24_e32 v1, 0xc8, v30
	v_add3_u32 v1, 0, v1, v13
	v_pack_b32_f16 v2, v29, v47
	v_pack_b32_f16 v3, v24, v46
	ds_write2_b32 v1, v2, v3 offset1:10
	v_pack_b32_f16 v2, v25, v48
	v_pack_b32_f16 v3, v26, v45
	ds_write2_b32 v1, v2, v3 offset0:20 offset1:30
	v_pack_b32_f16 v2, v27, v44
	v_cmp_gt_u32_e64 s[0:1], 50, v38
	ds_write_b32 v1, v2 offset:160
	s_waitcnt lgkmcnt(0)
	s_barrier
	s_waitcnt lgkmcnt(0)
                                        ; implicit-def: $vgpr35
                                        ; implicit-def: $vgpr33
                                        ; implicit-def: $vgpr31
	s_and_saveexec_b64 s[2:3], s[0:1]
	s_cbranch_execz .LBB0_15
; %bb.14:
	v_mul_i32_i24_e32 v1, 0xffffffdc, v38
	v_add_u32_e32 v0, v0, v1
	v_add_u32_e32 v1, 0x400, v0
	ds_read2_b32 v[20:21], v0 offset1:50
	ds_read2_b32 v[22:23], v0 offset0:100 offset1:150
	ds_read2_b32 v[28:29], v0 offset0:200 offset1:250
	;; [unrolled: 1-line block ×4, first 2 shown]
	v_add_u32_e32 v1, 0x600, v0
	ds_read2_b32 v[30:31], v1 offset0:116 offset1:166
	v_add_u32_e32 v1, 0x800, v0
	ds_read2_b32 v[32:33], v1 offset0:88 offset1:138
	ds_read2_b32 v[34:35], v1 offset0:188 offset1:238
	ds_read_b32 v51, v0 offset:3200
	s_waitcnt lgkmcnt(8)
	v_lshrrev_b32_e32 v39, 16, v20
	s_waitcnt lgkmcnt(5)
	v_lshrrev_b32_e32 v45, 16, v26
	v_lshrrev_b32_e32 v44, 16, v27
	s_waitcnt lgkmcnt(3)
	v_lshrrev_b32_e32 v49, 16, v30
	;; [unrolled: 3-line block ×5, first 2 shown]
	v_lshrrev_b32_e32 v40, 16, v21
	v_lshrrev_b32_e32 v42, 16, v22
	;; [unrolled: 1-line block ×7, first 2 shown]
.LBB0_15:
	s_or_b64 exec, exec, s[2:3]
	v_cmp_gt_u32_e64 s[2:3], 50, v38
	s_and_b64 s[2:3], vcc, s[2:3]
	s_and_saveexec_b64 s[6:7], s[2:3]
	s_cbranch_execz .LBB0_17
; %bb.16:
	v_lshlrev_b32_e32 v0, 4, v38
	v_add_u32_e32 v1, 0xfffffce0, v0
	v_cndmask_b32_e64 v0, v1, v0, s[0:1]
	v_mov_b32_e32 v1, 0
	v_lshlrev_b64 v[0:1], 2, v[0:1]
	v_mov_b32_e32 v2, s13
	v_add_co_u32_e32 v36, vcc, s12, v0
	v_addc_co_u32_e32 v37, vcc, v2, v1, vcc
	global_load_dwordx4 v[0:3], v[36:37], off offset:208
	global_load_dwordx4 v[4:7], v[36:37], off offset:192
	;; [unrolled: 1-line block ×4, first 2 shown]
	v_mul_lo_u32 v57, s5, v18
	v_mul_lo_u32 v58, s4, v19
	v_mad_u64_u32 v[36:37], s[0:1], s4, v18, 0
	v_mad_u64_u32 v[18:19], s[4:5], s20, v38, 0
	v_add3_u32 v37, v37, v58, v57
	s_mov_b32 s5, 0xb461
	s_movk_i32 s2, 0x3b76
	s_mov_b32 s4, 0xb8d2
	s_mov_b32 s0, 0xbbdd
	s_movk_i32 s14, 0x31e1
	s_mov_b32 s1, 0xbacd
	s_movk_i32 s3, 0x39e9
	s_mov_b32 s8, 0xb5c8
	s_mov_b32 s9, 0xb964
	s_movk_i32 s16, 0x3a62
	s_movk_i32 s13, 0x3bb2
	s_mov_b32 s12, 0xbbf7
	s_movk_i32 s23, 0x3bf7
	s_mov_b32 s15, 0xba62
	;; [unrolled: 2-line block ×5, first 2 shown]
	s_waitcnt vmcnt(3)
	v_mul_f16_sdwa v58, v54, v1 dst_sel:DWORD dst_unused:UNUSED_PAD src0_sel:DWORD src1_sel:WORD_1
	v_mul_f16_sdwa v59, v35, v2 dst_sel:DWORD dst_unused:UNUSED_PAD src0_sel:DWORD src1_sel:WORD_1
	;; [unrolled: 1-line block ×8, first 2 shown]
	v_fma_f16 v58, v34, v1, v58
	v_fma_f16 v34, v56, v3, -v61
	v_fma_f16 v56, v51, v3, v62
	v_fma_f16 v51, v53, v2, -v59
	v_fma_f16 v53, v54, v1, -v60
	;; [unrolled: 1-line block ×3, first 2 shown]
	v_fma_f16 v55, v33, v0, v64
	v_mov_b32_e32 v0, v19
	v_mad_u64_u32 v[0:1], s[6:7], s21, v38, v[0:1]
	s_waitcnt vmcnt(0)
	v_mul_f16_sdwa v87, v21, v12 dst_sel:DWORD dst_unused:UNUSED_PAD src0_sel:DWORD src1_sel:WORD_1
	v_mul_f16_sdwa v71, v27, v4 dst_sel:DWORD dst_unused:UNUSED_PAD src0_sel:DWORD src1_sel:WORD_1
	v_mov_b32_e32 v19, v0
	v_lshlrev_b64 v[0:1], 2, v[36:37]
	v_mul_f16_sdwa v72, v44, v4 dst_sel:DWORD dst_unused:UNUSED_PAD src0_sel:DWORD src1_sel:WORD_1
	v_mul_f16_sdwa v88, v40, v12 dst_sel:DWORD dst_unused:UNUSED_PAD src0_sel:DWORD src1_sel:WORD_1
	v_fma_f16 v40, v40, v12, -v87
	v_mul_f16_sdwa v65, v52, v7 dst_sel:DWORD dst_unused:UNUSED_PAD src0_sel:DWORD src1_sel:WORD_1
	v_mul_f16_sdwa v66, v32, v7 dst_sel:DWORD dst_unused:UNUSED_PAD src0_sel:DWORD src1_sel:WORD_1
	;; [unrolled: 1-line block ×4, first 2 shown]
	v_fma_f16 v57, v35, v2, v57
	v_fma_f16 v44, v44, v4, -v71
	v_fma_f16 v62, v27, v4, v72
	v_fma_f16 v4, v21, v12, v88
	v_add_co_u32_e32 v2, vcc, s10, v0
	v_sub_f16_e32 v0, v40, v34
	v_mul_f16_sdwa v67, v50, v6 dst_sel:DWORD dst_unused:UNUSED_PAD src0_sel:DWORD src1_sel:WORD_1
	v_mul_f16_sdwa v68, v49, v5 dst_sel:DWORD dst_unused:UNUSED_PAD src0_sel:DWORD src1_sel:WORD_1
	;; [unrolled: 1-line block ×13, first 2 shown]
	v_fma_f16 v59, v32, v7, v65
	v_fma_f16 v52, v52, v7, -v66
	v_fma_f16 v65, v26, v11, v77
	v_fma_f16 v45, v45, v11, -v78
	v_mov_b32_e32 v3, s11
	v_mul_f16_e32 v7, 0xbbb2, v0
	v_add_f16_e32 v11, v56, v4
	v_mul_f16_sdwa v81, v42, v13 dst_sel:DWORD dst_unused:UNUSED_PAD src0_sel:DWORD src1_sel:WORD_1
	v_mul_f16_sdwa v82, v43, v14 dst_sel:DWORD dst_unused:UNUSED_PAD src0_sel:DWORD src1_sel:WORD_1
	;; [unrolled: 1-line block ×3, first 2 shown]
	v_fma_f16 v60, v31, v6, v67
	v_fma_f16 v61, v30, v5, v68
	v_fma_f16 v50, v50, v6, -v69
	v_fma_f16 v49, v49, v5, -v70
	v_fma_f16 v63, v24, v9, v73
	v_fma_f16 v64, v25, v10, v74
	v_fma_f16 v46, v46, v9, -v75
	v_fma_f16 v48, v48, v10, -v76
	v_fma_f16 v47, v47, v8, -v79
	v_fma_f16 v66, v29, v8, v80
	v_fma_f16 v69, v28, v15, v85
	v_fma_f16 v42, v42, v13, -v83
	v_fma_f16 v41, v41, v15, -v86
	s_movk_i32 s6, 0x3722
	v_addc_co_u32_e32 v3, vcc, v3, v1, vcc
	v_mul_f16_e32 v1, 0xb1e1, v0
	v_mul_f16_e32 v5, 0xb836, v0
	;; [unrolled: 1-line block ×7, first 2 shown]
	v_fma_f16 v15, v11, s5, v7
	v_fma_f16 v7, v11, s5, -v7
	v_add_f16_e32 v76, v34, v40
	v_fma_f16 v67, v22, v13, v81
	v_fma_f16 v68, v23, v14, v82
	v_fma_f16 v43, v43, v14, -v84
	v_fma_f16 v14, v11, s4, v6
	v_fma_f16 v6, v11, s4, -v6
	;; [unrolled: 2-line block ×4, first 2 shown]
	v_add_f16_e32 v33, v20, v7
	v_sub_f16_e32 v7, v4, v56
	v_mul_f16_e32 v77, 0xbbdd, v76
	v_add_f16_e32 v78, v51, v42
	s_movk_i32 s7, 0x2de8
	v_fma_f16 v12, v11, s0, v1
	v_fma_f16 v1, v11, s0, -v1
	v_add_f16_e32 v35, v20, v6
	v_add_f16_e32 v26, v20, v9
	;; [unrolled: 1-line block ×3, first 2 shown]
	v_fma_f16 v0, v7, s14, v77
	v_mul_f16_e32 v79, 0x3b76, v78
	v_sub_f16_e32 v9, v67, v57
	v_add_f16_e32 v80, v53, v43
	v_fma_f16 v13, v11, s1, v5
	v_fma_f16 v5, v11, s1, -v5
	v_fma_f16 v21, v11, s7, v8
	v_fma_f16 v8, v11, s7, -v8
	;; [unrolled: 2-line block ×3, first 2 shown]
	v_add_f16_e32 v73, v20, v1
	v_add_f16_e32 v0, v39, v0
	v_fma_f16 v1, v9, s8, v79
	s_movk_i32 s11, 0x3836
	v_mul_f16_e32 v81, 0xbacd, v80
	v_sub_f16_e32 v11, v68, v58
	v_add_f16_e32 v82, v54, v41
	v_add_f16_e32 v25, v20, v12
	v_add_f16_e32 v0, v0, v1
	v_fma_f16 v1, v11, s11, v81
	v_mul_f16_e32 v83, 0x39e9, v82
	v_sub_f16_e32 v12, v69, v55
	v_add_f16_e32 v84, v52, v47
	v_add_f16_e32 v30, v20, v13
	v_add_f16_e32 v0, v0, v1
	v_fma_f16 v1, v12, s9, v83
	;; [unrolled: 6-line block ×3, first 2 shown]
	s_mov_b32 s10, 0xbb29
	v_mul_f16_e32 v87, 0x3722, v86
	v_sub_f16_e32 v14, v63, v60
	v_add_f16_e32 v88, v49, v48
	v_add_f16_e32 v36, v20, v15
	;; [unrolled: 1-line block ×3, first 2 shown]
	v_fma_f16 v1, v14, s10, v87
	v_mul_f16_e32 v89, 0xb461, v88
	v_sub_f16_e32 v15, v64, v61
	v_add_f16_e32 v90, v44, v45
	v_add_f16_e32 v37, v20, v21
	;; [unrolled: 1-line block ×3, first 2 shown]
	v_fma_f16 v1, v15, s13, v89
	v_mul_f16_e32 v91, 0x2de8, v90
	v_sub_f16_e32 v21, v65, v62
	v_sub_f16_e32 v92, v42, v51
	v_add_f16_e32 v70, v20, v22
	v_add_f16_e32 v0, v0, v1
	v_fma_f16 v1, v21, s12, v91
	v_add_f16_e32 v22, v57, v67
	v_mul_f16_e32 v93, 0x35c8, v92
	v_sub_f16_e32 v94, v43, v53
	v_add_f16_e32 v71, v20, v23
	v_add_f16_e32 v0, v0, v1
	v_fma_f16 v1, v22, s2, v93
	v_add_f16_e32 v23, v58, v68
	v_mul_f16_e32 v95, 0xb836, v94
	v_sub_f16_e32 v96, v41, v54
	v_add_f16_e32 v72, v20, v24
	v_add_f16_e32 v75, v20, v4
	;; [unrolled: 1-line block ×3, first 2 shown]
	v_fma_f16 v4, v23, s1, v95
	v_add_f16_e32 v24, v55, v69
	v_mul_f16_e32 v97, 0x3964, v96
	v_sub_f16_e32 v98, v47, v52
	v_add_f16_e32 v1, v1, v4
	v_fma_f16 v4, v24, s3, v97
	v_add_f16_e32 v27, v59, v66
	v_mul_f16_e32 v99, 0xba62, v98
	v_sub_f16_e32 v100, v46, v50
	v_add_f16_e32 v1, v1, v4
	v_fma_f16 v4, v27, s4, v99
	v_add_f16_e32 v28, v60, v63
	v_mul_f16_e32 v101, 0x3b29, v100
	v_sub_f16_e32 v102, v48, v49
	v_add_f16_e32 v1, v1, v4
	v_fma_f16 v4, v28, s6, v101
	v_add_f16_e32 v29, v61, v64
	v_mul_f16_e32 v103, 0xbbb2, v102
	v_sub_f16_e32 v104, v45, v44
	v_add_f16_e32 v1, v1, v4
	v_fma_f16 v4, v29, s5, v103
	v_add_f16_e32 v25, v62, v65
	v_mul_f16_e32 v105, 0x3bf7, v104
	v_add_f16_e32 v1, v1, v4
	v_fma_f16 v4, v25, s7, v105
	v_mul_f16_e32 v106, 0xbacd, v76
	v_add_f16_e32 v1, v1, v4
	v_fma_f16 v4, v7, s11, v106
	v_mul_f16_e32 v107, 0x3722, v78
	v_add_f16_e32 v74, v20, v5
	v_add_f16_e32 v4, v39, v4
	v_fma_f16 v5, v9, s10, v107
	v_mul_f16_e32 v108, 0x2de8, v80
	v_add_f16_e32 v4, v4, v5
	v_fma_f16 v5, v11, s23, v108
	v_mul_f16_e32 v109, 0xb8d2, v82
	;; [unrolled: 3-line block ×8, first 2 shown]
	v_add_f16_e32 v31, v20, v8
	v_add_f16_e32 v5, v30, v5
	v_fma_f16 v8, v23, s7, v115
	v_mul_f16_e32 v116, 0x3a62, v96
	v_add_f16_e32 v5, v5, v8
	v_fma_f16 v8, v24, s4, v116
	v_mul_f16_e32 v117, 0xb5c8, v98
	;; [unrolled: 3-line block ×7, first 2 shown]
	v_add_f16_e32 v10, v20, v10
	v_add_f16_e32 v8, v39, v8
	v_fma_f16 v20, v9, s18, v122
	v_mul_f16_e32 v123, 0x3b76, v80
	v_add_f16_e32 v8, v8, v20
	v_fma_f16 v20, v11, s17, v123
	v_mul_f16_e32 v124, 0xbacd, v82
	;; [unrolled: 3-line block ×11, first 2 shown]
	v_add_f16_e32 v40, v39, v40
	v_add_f16_e32 v20, v20, v30
	v_fma_f16 v30, v28, s3, v133
	v_mul_f16_e32 v134, 0xb1e1, v102
	v_add_f16_e32 v40, v40, v42
	v_add_f16_e32 v20, v20, v30
	v_fma_f16 v30, v29, s0, v134
	v_mul_f16_e32 v135, 0x3b29, v104
	;; [unrolled: 4-line block ×15, first 2 shown]
	v_add_f16_e32 v34, v34, v40
	v_fma_f16 v40, v7, s25, v77
	v_add_f16_e32 v32, v32, v36
	v_fma_f16 v36, v28, s7, v148
	v_mul_f16_e32 v149, 0xb5c8, v102
	v_add_f16_e32 v40, v39, v40
	v_fma_f16 v41, v9, s17, v79
	v_add_f16_e32 v32, v32, v36
	v_fma_f16 v36, v29, s2, v149
	v_mul_f16_e32 v150, 0xba62, v104
	;; [unrolled: 5-line block ×4, first 2 shown]
	v_add_f16_e32 v40, v40, v41
	v_fma_f16 v41, v13, s15, v85
	v_add_f16_e32 v36, v39, v36
	v_fma_f16 v153, v9, s14, v152
	;; [unrolled: 2-line block ×3, first 2 shown]
	v_add_f16_e32 v36, v36, v153
	v_mul_f16_e32 v153, 0xb461, v80
	v_add_f16_e32 v40, v40, v41
	v_fma_f16 v41, v15, s18, v89
	v_fma_f16 v154, v11, s18, v153
	v_add_f16_e32 v40, v40, v41
	v_fma_f16 v41, v21, s23, v91
	v_add_f16_e32 v36, v36, v154
	v_mul_f16_e32 v154, 0x3b76, v82
	v_add_f16_e32 v40, v40, v41
	v_fma_f16 v41, v22, s2, -v93
	v_fma_f16 v155, v12, s8, v154
	v_add_f16_e32 v41, v73, v41
	v_fma_f16 v42, v23, s1, -v95
	v_add_f16_e32 v36, v36, v155
	v_mul_f16_e32 v155, 0x3722, v84
	v_add_f16_e32 v41, v41, v42
	v_fma_f16 v42, v24, s3, -v97
	v_fma_f16 v156, v13, s24, v155
	v_add_f16_e32 v41, v41, v42
	v_fma_f16 v42, v27, s4, -v99
	;; [unrolled: 7-line block ×3, first 2 shown]
	v_add_f16_e32 v36, v36, v157
	v_mul_f16_e32 v157, 0xb8d2, v88
	v_add_f16_e32 v41, v41, v42
	v_fma_f16 v42, v25, s7, -v105
	v_fma_f16 v158, v15, s15, v157
	v_add_f16_e32 v41, v41, v42
	v_fma_f16 v42, v7, s19, v106
	v_add_f16_e32 v36, v36, v158
	v_mul_f16_e32 v158, 0x39e9, v90
	v_add_f16_e32 v42, v39, v42
	v_fma_f16 v43, v9, s24, v107
	v_fma_f16 v159, v21, s9, v158
	v_add_f16_e32 v42, v42, v43
	v_fma_f16 v43, v11, s12, v108
	v_add_f16_e32 v36, v36, v159
	v_mul_f16_e32 v159, 0xb1e1, v92
	v_add_f16_e32 v42, v42, v43
	v_fma_f16 v43, v12, s16, v109
	;; [unrolled: 7-line block ×4, first 2 shown]
	v_fma_f16 v162, v24, s2, v161
	v_add_f16_e32 v42, v42, v43
	v_fma_f16 v43, v22, s6, -v114
	v_add_f16_e32 v37, v37, v162
	v_mul_f16_e32 v162, 0xbb29, v98
	v_add_f16_e32 v43, v74, v43
	v_fma_f16 v44, v23, s7, -v115
	v_fma_f16 v163, v27, s6, v162
	v_add_f16_e32 v43, v43, v44
	v_fma_f16 v44, v24, s4, -v116
	v_add_f16_e32 v37, v37, v163
	v_mul_f16_e32 v163, 0xb836, v100
	v_add_f16_e32 v43, v43, v44
	v_fma_f16 v44, v27, s2, -v117
	;; [unrolled: 7-line block ×3, first 2 shown]
	v_fma_f16 v165, v29, s4, v164
	v_add_f16_e32 v43, v43, v44
	v_fma_f16 v44, v25, s5, -v120
	v_add_f16_e32 v37, v37, v165
	v_mul_f16_e32 v165, 0x3964, v104
	v_add_f16_e32 v43, v43, v44
	v_fma_f16 v44, v7, s15, v121
	v_fma_f16 v166, v25, s3, v165
	v_add_f16_e32 v44, v39, v44
	v_fma_f16 v45, v9, s13, v122
	v_add_f16_e32 v37, v37, v166
	v_mul_f16_e32 v166, 0x3722, v76
	v_add_f16_e32 v44, v44, v45
	v_fma_f16 v45, v11, s8, v123
	v_fma_f16 v167, v7, s24, v166
	v_mul_f16_e32 v168, 0xb8d2, v78
	v_add_f16_e32 v44, v44, v45
	v_fma_f16 v45, v12, s19, v124
	v_add_f16_e32 v167, v39, v167
	v_fma_f16 v169, v9, s16, v168
	;; [unrolled: 2-line block ×3, first 2 shown]
	v_add_f16_e32 v167, v167, v169
	v_mul_f16_e32 v169, 0xbbdd, v80
	v_add_f16_e32 v44, v44, v45
	v_fma_f16 v45, v14, s9, v126
	v_fma_f16 v170, v11, s25, v169
	v_add_f16_e32 v44, v44, v45
	v_fma_f16 v45, v15, s25, v127
	v_add_f16_e32 v167, v167, v170
	v_mul_f16_e32 v170, 0xb461, v82
	v_add_f16_e32 v44, v44, v45
	v_fma_f16 v45, v21, s24, v128
	v_fma_f16 v171, v12, s18, v170
	v_add_f16_e32 v44, v44, v45
	v_fma_f16 v45, v22, s5, -v129
	v_add_f16_e32 v167, v167, v171
	v_mul_f16_e32 v171, 0x39e9, v84
	v_add_f16_e32 v35, v35, v45
	v_fma_f16 v45, v23, s2, -v130
	v_fma_f16 v172, v13, s9, v171
	v_add_f16_e32 v35, v35, v45
	v_fma_f16 v45, v24, s1, -v131
	v_add_f16_e32 v167, v167, v172
	v_mul_f16_e32 v172, 0x3b76, v86
	v_add_f16_e32 v35, v35, v45
	v_fma_f16 v45, v27, s7, -v132
	;; [unrolled: 7-line block ×3, first 2 shown]
	v_fma_f16 v174, v15, s23, v173
	v_add_f16_e32 v35, v35, v45
	v_fma_f16 v45, v25, s6, -v135
	v_add_f16_e32 v167, v167, v174
	v_mul_f16_e32 v174, 0xbacd, v90
	v_add_f16_e32 v35, v35, v45
	v_fma_f16 v45, v7, s18, v136
	v_fma_f16 v175, v21, s11, v174
	v_add_f16_e32 v45, v39, v45
	v_fma_f16 v46, v9, s11, v137
	v_add_f16_e32 v167, v167, v175
	v_mul_f16_e32 v175, 0xba62, v92
	v_add_f16_e32 v45, v45, v46
	v_fma_f16 v46, v11, s22, v138
	v_fma_f16 v176, v22, s4, v175
	v_add_f16_e32 v45, v45, v46
	v_fma_f16 v46, v12, s10, v139
	;; [unrolled: 7-line block ×4, first 2 shown]
	v_add_f16_e32 v70, v70, v178
	v_mul_f16_e32 v178, 0x3964, v98
	v_add_f16_e32 v45, v45, v46
	v_fma_f16 v46, v22, s1, -v144
	v_fma_f16 v179, v27, s3, v178
	v_add_f16_e32 v33, v33, v46
	v_fma_f16 v46, v23, s3, -v145
	v_add_f16_e32 v70, v70, v179
	v_mul_f16_e32 v179, 0xb5c8, v100
	v_add_f16_e32 v33, v33, v46
	v_fma_f16 v46, v24, s6, -v146
	v_fma_f16 v180, v28, s2, v179
	v_add_f16_e32 v33, v33, v46
	v_fma_f16 v46, v27, s0, -v147
	v_add_f16_e32 v70, v70, v180
	v_mul_f16_e32 v180, 0xbbf7, v102
	v_add_f16_e32 v33, v33, v46
	v_fma_f16 v46, v28, s7, -v148
	v_fma_f16 v181, v29, s7, v180
	v_add_f16_e32 v33, v33, v46
	v_fma_f16 v46, v29, s2, -v149
	v_add_f16_e32 v70, v70, v181
	v_mul_f16_e32 v181, 0xb836, v104
	v_add_f16_e32 v33, v33, v46
	v_fma_f16 v46, v25, s4, -v150
	v_fma_f16 v182, v25, s1, v181
	v_add_f16_e32 v33, v33, v46
	v_fma_f16 v46, v7, s12, v151
	v_add_f16_e32 v70, v70, v182
	v_mul_f16_e32 v182, 0x39e9, v76
	v_add_f16_e32 v46, v39, v46
	v_fma_f16 v47, v9, s25, v152
	v_fma_f16 v183, v7, s22, v182
	v_mul_f16_e32 v184, 0x2de8, v78
	v_add_f16_e32 v46, v46, v47
	v_fma_f16 v47, v11, s13, v153
	v_add_f16_e32 v183, v39, v183
	v_fma_f16 v185, v9, s23, v184
	;; [unrolled: 2-line block ×3, first 2 shown]
	v_add_f16_e32 v183, v183, v185
	v_mul_f16_e32 v185, 0xb8d2, v80
	v_add_f16_e32 v46, v46, v47
	v_fma_f16 v47, v13, s10, v155
	v_fma_f16 v186, v11, s16, v185
	v_add_f16_e32 v46, v46, v47
	v_fma_f16 v47, v14, s19, v156
	v_add_f16_e32 v183, v183, v186
	v_mul_f16_e32 v186, 0xbbdd, v82
	v_add_f16_e32 v46, v46, v47
	v_fma_f16 v47, v15, s16, v157
	v_fma_f16 v187, v12, s14, v186
	v_add_f16_e32 v46, v46, v47
	v_fma_f16 v47, v21, s22, v158
	v_add_f16_e32 v183, v183, v187
	v_mul_f16_e32 v187, 0xbacd, v84
	v_add_f16_e32 v46, v46, v47
	v_fma_f16 v47, v22, s0, -v159
	v_fma_f16 v188, v13, s19, v187
	v_add_f16_e32 v31, v31, v47
	v_fma_f16 v47, v23, s5, -v160
	v_add_f16_e32 v183, v183, v188
	v_mul_f16_e32 v188, 0xb461, v86
	v_add_f16_e32 v31, v31, v47
	v_fma_f16 v47, v24, s2, -v161
	v_fma_f16 v189, v14, s18, v188
	v_add_f16_e32 v31, v31, v47
	v_fma_f16 v47, v27, s6, -v162
	;; [unrolled: 7-line block ×3, first 2 shown]
	v_add_f16_e32 v183, v183, v190
	v_mul_f16_e32 v190, 0x3b76, v90
	v_add_f16_e32 v31, v31, v47
	v_fma_f16 v47, v25, s3, -v165
	v_fma_f16 v191, v21, s8, v190
	v_add_f16_e32 v31, v31, v47
	v_fma_f16 v47, v7, s10, v166
	v_add_f16_e32 v183, v183, v191
	v_mul_f16_e32 v191, 0xbbf7, v92
	v_add_f16_e32 v47, v39, v47
	v_fma_f16 v48, v9, s15, v168
	v_fma_f16 v192, v22, s7, v191
	v_add_f16_e32 v47, v47, v48
	v_fma_f16 v48, v11, s14, v169
	v_add_f16_e32 v71, v71, v192
	v_mul_f16_e32 v192, 0xba62, v94
	v_add_f16_e32 v47, v47, v48
	v_fma_f16 v48, v12, s13, v170
	;; [unrolled: 7-line block ×4, first 2 shown]
	v_fma_f16 v195, v27, s1, v194
	v_add_f16_e32 v47, v47, v48
	v_fma_f16 v48, v22, s4, -v175
	v_add_f16_e32 v71, v71, v195
	v_mul_f16_e32 v195, 0x3bb2, v100
	v_add_f16_e32 v26, v26, v48
	v_fma_f16 v48, v23, s0, -v176
	v_fma_f16 v196, v28, s5, v195
	v_add_f16_e32 v26, v26, v48
	v_fma_f16 v48, v24, s5, -v177
	v_add_f16_e32 v71, v71, v196
	v_mul_f16_e32 v196, 0x3b29, v102
	v_add_f16_e32 v26, v26, v48
	v_fma_f16 v48, v27, s3, -v178
	;; [unrolled: 7-line block ×3, first 2 shown]
	v_fma_f16 v198, v25, s2, v197
	v_mul_f16_e32 v76, 0x3b76, v76
	v_add_f16_e32 v26, v26, v48
	v_fma_f16 v48, v25, s1, -v181
	v_add_f16_e32 v71, v71, v198
	v_fma_f16 v198, v7, s17, v76
	v_mul_f16_e32 v78, 0x39e9, v78
	v_add_f16_e32 v26, v26, v48
	v_fma_f16 v48, v7, s9, v182
	v_fma_f16 v7, v7, s8, v76
	;; [unrolled: 1-line block ×3, first 2 shown]
	v_mul_f16_e32 v80, 0x3722, v80
	v_fma_f16 v49, v9, s12, v184
	v_add_f16_e32 v7, v39, v7
	v_fma_f16 v9, v9, s9, v78
	v_mul_f16_e32 v82, 0x2de8, v82
	v_add_f16_e32 v7, v7, v9
	v_fma_f16 v9, v11, s10, v80
	v_mul_f16_e32 v84, 0xb461, v84
	;; [unrolled: 3-line block ×3, first 2 shown]
	v_add_f16_e32 v48, v39, v48
	v_add_f16_e32 v7, v7, v9
	v_fma_f16 v9, v13, s18, v84
	v_mul_f16_e32 v88, 0xbacd, v88
	v_add_f16_e32 v67, v75, v67
	v_add_f16_e32 v48, v48, v49
	v_fma_f16 v49, v11, s15, v185
	v_add_f16_e32 v7, v7, v9
	v_fma_f16 v9, v14, s15, v86
	v_add_f16_e32 v198, v39, v198
	v_mul_f16_e32 v90, 0xbbdd, v90
	v_add_f16_e32 v67, v67, v68
	v_add_f16_e32 v48, v48, v49
	v_fma_f16 v49, v12, s25, v186
	v_add_f16_e32 v7, v7, v9
	v_fma_f16 v9, v15, s19, v88
	;; [unrolled: 2-line block ×3, first 2 shown]
	v_mul_f16_e32 v92, 0xb964, v92
	v_add_f16_e32 v67, v67, v69
	v_add_f16_e32 v48, v48, v49
	v_fma_f16 v49, v13, s11, v187
	v_add_f16_e32 v7, v7, v9
	v_fma_f16 v9, v21, s25, v90
	;; [unrolled: 2-line block ×3, first 2 shown]
	v_mul_f16_e32 v94, 0xbb29, v94
	v_add_f16_e32 v66, v67, v66
	v_add_f16_e32 v48, v48, v49
	v_fma_f16 v49, v14, s13, v188
	v_add_f16_e32 v12, v7, v9
	v_fma_f16 v7, v22, s3, -v92
	v_mul_f16_e32 v96, 0xbbf7, v96
	v_add_f16_e32 v63, v66, v63
	v_add_f16_e32 v48, v48, v49
	v_fma_f16 v49, v15, s24, v189
	v_add_f16_e32 v6, v6, v7
	v_fma_f16 v7, v23, s6, -v94
	;; [unrolled: 6-line block ×3, first 2 shown]
	v_mul_f16_e32 v100, 0xba62, v100
	v_add_f16_e32 v63, v63, v65
	v_add_f16_e32 v48, v48, v49
	v_fma_f16 v49, v22, s7, -v191
	v_add_f16_e32 v6, v6, v7
	v_fma_f16 v7, v27, s5, -v98
	v_add_f16_e32 v198, v198, v199
	v_fma_f16 v199, v13, s13, v84
	v_mul_f16_e32 v102, 0xb836, v102
	v_add_f16_e32 v62, v62, v63
	v_add_f16_e32 v10, v10, v49
	v_fma_f16 v49, v23, s4, -v192
	v_add_f16_e32 v6, v6, v7
	v_fma_f16 v7, v28, s4, -v100
	v_add_f16_e32 v198, v198, v199
	v_fma_f16 v199, v14, s16, v86
	v_add_f16_e32 v61, v61, v62
	v_add_f16_e32 v10, v10, v49
	v_fma_f16 v49, v24, s0, -v193
	v_add_f16_e32 v6, v6, v7
	v_fma_f16 v7, v29, s1, -v102
	v_add_f16_e32 v198, v198, v199
	v_fma_f16 v199, v15, s11, v88
	v_add_f16_e32 v60, v60, v61
	v_add_f16_e32 v10, v10, v49
	v_fma_f16 v49, v27, s1, -v194
	v_add_f16_e32 v11, v6, v7
	v_lshlrev_b64 v[6:7], 2, v[16:17]
	v_add_f16_e32 v198, v198, v199
	v_fma_f16 v199, v21, s14, v90
	v_add_f16_e32 v59, v59, v60
	v_add_f16_e32 v10, v10, v49
	v_fma_f16 v49, v28, s5, -v195
	v_add_f16_e32 v198, v198, v199
	v_fma_f16 v199, v22, s3, v92
	v_add_f16_e32 v55, v55, v59
	v_add_f16_e32 v10, v10, v49
	v_fma_f16 v49, v29, s6, -v196
	v_add_co_u32_e32 v13, vcc, v2, v6
	v_add_u32_e32 v9, 50, v38
	v_add_f16_e32 v72, v72, v199
	v_fma_f16 v199, v23, s6, v94
	v_add_f16_e32 v55, v58, v55
	v_add_f16_e32 v10, v10, v49
	v_fma_f16 v49, v25, s2, -v197
	v_addc_co_u32_e32 v14, vcc, v3, v7, vcc
	v_lshlrev_b64 v[2:3], 2, v[18:19]
	v_mad_u64_u32 v[6:7], s[2:3], s20, v9, 0
	v_add_f16_e32 v72, v72, v199
	v_fma_f16 v199, v24, s7, v96
	v_add_f16_e32 v55, v57, v55
	v_add_f16_e32 v72, v72, v199
	v_fma_f16 v199, v27, s5, v98
	v_add_f16_e32 v55, v56, v55
	v_add_co_u32_e32 v2, vcc, v13, v2
	v_add_f16_e32 v72, v72, v199
	v_fma_f16 v199, v28, s4, v100
	v_add_f16_e32 v49, v10, v49
	v_addc_co_u32_e32 v3, vcc, v14, v3, vcc
	v_pack_b32_f16 v10, v55, v34
	v_add_f16_e32 v72, v72, v199
	v_fma_f16 v199, v29, s1, v102
	v_mul_f16_e32 v104, 0xb1e1, v104
	global_store_dword v[2:3], v10, off
	v_mov_b32_e32 v2, v7
	v_add_f16_e32 v72, v72, v199
	v_fma_f16 v199, v25, s0, v104
	v_fma_f16 v15, v25, s0, -v104
	v_mad_u64_u32 v[2:3], s[0:1], s21, v9, v[2:3]
	v_add_u32_e32 v16, 0x64, v38
	v_mad_u64_u32 v[9:10], s[0:1], s20, v16, 0
	v_mov_b32_e32 v7, v2
	v_lshlrev_b64 v[2:3], 2, v[6:7]
	v_mov_b32_e32 v6, v10
	v_mad_u64_u32 v[6:7], s[0:1], s21, v16, v[6:7]
	v_add_f16_e32 v72, v72, v199
	v_add_co_u32_e32 v2, vcc, v13, v2
	v_addc_co_u32_e32 v3, vcc, v14, v3, vcc
	v_pack_b32_f16 v7, v72, v198
	v_mov_b32_e32 v10, v6
	global_store_dword v[2:3], v7, off
	v_lshlrev_b64 v[2:3], 2, v[9:10]
	v_add_u32_e32 v9, 0x96, v38
	v_mad_u64_u32 v[6:7], s[0:1], s20, v9, 0
	v_add_u32_e32 v17, 0xc8, v38
	v_add_f16_e32 v15, v11, v15
	v_mad_u64_u32 v[9:10], s[0:1], s21, v9, v[7:8]
	v_mad_u64_u32 v[10:11], s[0:1], s20, v17, 0
	v_add_co_u32_e32 v2, vcc, v13, v2
	v_addc_co_u32_e32 v3, vcc, v14, v3, vcc
	v_pack_b32_f16 v16, v71, v183
	v_mov_b32_e32 v7, v9
	global_store_dword v[2:3], v16, off
	v_lshlrev_b64 v[2:3], 2, v[6:7]
	v_mov_b32_e32 v6, v11
	v_mad_u64_u32 v[6:7], s[0:1], s21, v17, v[6:7]
	v_add_co_u32_e32 v2, vcc, v13, v2
	v_addc_co_u32_e32 v3, vcc, v14, v3, vcc
	v_pack_b32_f16 v7, v70, v167
	v_add_u32_e32 v9, 0xfa, v38
	global_store_dword v[2:3], v7, off
	v_mov_b32_e32 v11, v6
	v_mad_u64_u32 v[6:7], s[0:1], s20, v9, 0
	v_lshlrev_b64 v[2:3], 2, v[10:11]
	v_add_u32_e32 v17, 0x12c, v38
	v_mad_u64_u32 v[9:10], s[0:1], s21, v9, v[7:8]
	v_mad_u64_u32 v[10:11], s[0:1], s20, v17, 0
	v_add_co_u32_e32 v2, vcc, v13, v2
	v_addc_co_u32_e32 v3, vcc, v14, v3, vcc
	v_pack_b32_f16 v16, v37, v36
	v_mov_b32_e32 v7, v9
	global_store_dword v[2:3], v16, off
	v_lshlrev_b64 v[2:3], 2, v[6:7]
	v_mov_b32_e32 v6, v11
	v_mad_u64_u32 v[6:7], s[0:1], s21, v17, v[6:7]
	v_add_co_u32_e32 v2, vcc, v13, v2
	v_addc_co_u32_e32 v3, vcc, v14, v3, vcc
	v_pack_b32_f16 v7, v32, v30
	v_add_u32_e32 v9, 0x15e, v38
	global_store_dword v[2:3], v7, off
	v_mov_b32_e32 v11, v6
	v_mad_u64_u32 v[6:7], s[0:1], s20, v9, 0
	v_lshlrev_b64 v[2:3], 2, v[10:11]
	v_pack_b32_f16 v10, v20, v8
	v_mad_u64_u32 v[7:8], s[0:1], s21, v9, v[7:8]
	v_add_u32_e32 v11, 0x190, v38
	v_mad_u64_u32 v[8:9], s[0:1], s20, v11, 0
	v_add_co_u32_e32 v2, vcc, v13, v2
	v_addc_co_u32_e32 v3, vcc, v14, v3, vcc
	global_store_dword v[2:3], v10, off
	v_lshlrev_b64 v[2:3], 2, v[6:7]
	v_mov_b32_e32 v6, v9
	v_mad_u64_u32 v[6:7], s[0:1], s21, v11, v[6:7]
	v_add_co_u32_e32 v2, vcc, v13, v2
	v_addc_co_u32_e32 v3, vcc, v14, v3, vcc
	v_pack_b32_f16 v4, v5, v4
	v_mov_b32_e32 v9, v6
	v_add_u32_e32 v6, 0x1c2, v38
	global_store_dword v[2:3], v4, off
	v_mad_u64_u32 v[4:5], s[0:1], s20, v6, 0
	v_lshlrev_b64 v[2:3], 2, v[8:9]
	v_pack_b32_f16 v8, v1, v0
	v_mov_b32_e32 v0, v5
	v_add_u32_e32 v9, 0x1f4, v38
	v_mad_u64_u32 v[0:1], s[0:1], s21, v6, v[0:1]
	v_mad_u64_u32 v[6:7], s[0:1], s20, v9, 0
	v_add_co_u32_e32 v2, vcc, v13, v2
	v_addc_co_u32_e32 v3, vcc, v14, v3, vcc
	global_store_dword v[2:3], v8, off
	v_mov_b32_e32 v5, v0
	v_mov_b32_e32 v2, v7
	v_lshlrev_b64 v[0:1], 2, v[4:5]
	v_mad_u64_u32 v[2:3], s[0:1], s21, v9, v[2:3]
	v_add_co_u32_e32 v0, vcc, v13, v0
	v_addc_co_u32_e32 v1, vcc, v14, v1, vcc
	v_pack_b32_f16 v3, v41, v40
	v_add_u32_e32 v4, 0x226, v38
	global_store_dword v[0:1], v3, off
	v_mov_b32_e32 v7, v2
	v_mad_u64_u32 v[2:3], s[0:1], s20, v4, 0
	v_lshlrev_b64 v[0:1], 2, v[6:7]
	v_add_u32_e32 v7, 0x258, v38
	v_mad_u64_u32 v[3:4], s[0:1], s21, v4, v[3:4]
	v_mad_u64_u32 v[4:5], s[0:1], s20, v7, 0
	v_add_co_u32_e32 v0, vcc, v13, v0
	v_addc_co_u32_e32 v1, vcc, v14, v1, vcc
	v_pack_b32_f16 v6, v43, v42
	global_store_dword v[0:1], v6, off
	v_lshlrev_b64 v[0:1], 2, v[2:3]
	v_mov_b32_e32 v2, v5
	v_mad_u64_u32 v[2:3], s[0:1], s21, v7, v[2:3]
	v_add_co_u32_e32 v0, vcc, v13, v0
	v_addc_co_u32_e32 v1, vcc, v14, v1, vcc
	v_pack_b32_f16 v3, v35, v44
	v_mov_b32_e32 v5, v2
	global_store_dword v[0:1], v3, off
	v_lshlrev_b64 v[0:1], 2, v[4:5]
	v_add_u32_e32 v4, 0x28a, v38
	v_mad_u64_u32 v[2:3], s[0:1], s20, v4, 0
	v_add_u32_e32 v7, 0x2bc, v38
	v_add_co_u32_e32 v0, vcc, v13, v0
	v_mad_u64_u32 v[3:4], s[0:1], s21, v4, v[3:4]
	v_mad_u64_u32 v[4:5], s[0:1], s20, v7, 0
	v_addc_co_u32_e32 v1, vcc, v14, v1, vcc
	v_pack_b32_f16 v6, v33, v45
	global_store_dword v[0:1], v6, off
	v_lshlrev_b64 v[0:1], 2, v[2:3]
	v_mov_b32_e32 v2, v5
	v_mad_u64_u32 v[2:3], s[0:1], s21, v7, v[2:3]
	v_add_co_u32_e32 v0, vcc, v13, v0
	v_addc_co_u32_e32 v1, vcc, v14, v1, vcc
	v_pack_b32_f16 v3, v31, v46
	v_mov_b32_e32 v5, v2
	global_store_dword v[0:1], v3, off
	v_lshlrev_b64 v[0:1], 2, v[4:5]
	v_add_u32_e32 v4, 0x2ee, v38
	v_mad_u64_u32 v[2:3], s[0:1], s20, v4, 0
	v_add_u32_e32 v7, 0x320, v38
	v_add_co_u32_e32 v0, vcc, v13, v0
	v_mad_u64_u32 v[3:4], s[0:1], s21, v4, v[3:4]
	v_mad_u64_u32 v[4:5], s[0:1], s20, v7, 0
	v_addc_co_u32_e32 v1, vcc, v14, v1, vcc
	v_pack_b32_f16 v6, v26, v47
	global_store_dword v[0:1], v6, off
	v_lshlrev_b64 v[0:1], 2, v[2:3]
	v_mov_b32_e32 v2, v5
	v_mad_u64_u32 v[2:3], s[0:1], s21, v7, v[2:3]
	v_add_co_u32_e32 v0, vcc, v13, v0
	v_addc_co_u32_e32 v1, vcc, v14, v1, vcc
	v_pack_b32_f16 v3, v49, v48
	v_mov_b32_e32 v5, v2
	global_store_dword v[0:1], v3, off
	v_lshlrev_b64 v[0:1], 2, v[4:5]
	v_pack_b32_f16 v2, v15, v12
	v_add_co_u32_e32 v0, vcc, v13, v0
	v_addc_co_u32_e32 v1, vcc, v14, v1, vcc
	global_store_dword v[0:1], v2, off
.LBB0_17:
	s_endpgm
	.section	.rodata,"a",@progbits
	.p2align	6, 0x0
	.amdhsa_kernel fft_rtc_back_len850_factors_10_5_17_wgs_85_tpt_85_half_op_CI_CI_sbrr_dirReg
		.amdhsa_group_segment_fixed_size 0
		.amdhsa_private_segment_fixed_size 0
		.amdhsa_kernarg_size 104
		.amdhsa_user_sgpr_count 6
		.amdhsa_user_sgpr_private_segment_buffer 1
		.amdhsa_user_sgpr_dispatch_ptr 0
		.amdhsa_user_sgpr_queue_ptr 0
		.amdhsa_user_sgpr_kernarg_segment_ptr 1
		.amdhsa_user_sgpr_dispatch_id 0
		.amdhsa_user_sgpr_flat_scratch_init 0
		.amdhsa_user_sgpr_private_segment_size 0
		.amdhsa_uses_dynamic_stack 0
		.amdhsa_system_sgpr_private_segment_wavefront_offset 0
		.amdhsa_system_sgpr_workgroup_id_x 1
		.amdhsa_system_sgpr_workgroup_id_y 0
		.amdhsa_system_sgpr_workgroup_id_z 0
		.amdhsa_system_sgpr_workgroup_info 0
		.amdhsa_system_vgpr_workitem_id 0
		.amdhsa_next_free_vgpr 200
		.amdhsa_next_free_sgpr 32
		.amdhsa_reserve_vcc 1
		.amdhsa_reserve_flat_scratch 0
		.amdhsa_float_round_mode_32 0
		.amdhsa_float_round_mode_16_64 0
		.amdhsa_float_denorm_mode_32 3
		.amdhsa_float_denorm_mode_16_64 3
		.amdhsa_dx10_clamp 1
		.amdhsa_ieee_mode 1
		.amdhsa_fp16_overflow 0
		.amdhsa_exception_fp_ieee_invalid_op 0
		.amdhsa_exception_fp_denorm_src 0
		.amdhsa_exception_fp_ieee_div_zero 0
		.amdhsa_exception_fp_ieee_overflow 0
		.amdhsa_exception_fp_ieee_underflow 0
		.amdhsa_exception_fp_ieee_inexact 0
		.amdhsa_exception_int_div_zero 0
	.end_amdhsa_kernel
	.text
.Lfunc_end0:
	.size	fft_rtc_back_len850_factors_10_5_17_wgs_85_tpt_85_half_op_CI_CI_sbrr_dirReg, .Lfunc_end0-fft_rtc_back_len850_factors_10_5_17_wgs_85_tpt_85_half_op_CI_CI_sbrr_dirReg
                                        ; -- End function
	.section	.AMDGPU.csdata,"",@progbits
; Kernel info:
; codeLenInByte = 10796
; NumSgprs: 36
; NumVgprs: 200
; ScratchSize: 0
; MemoryBound: 0
; FloatMode: 240
; IeeeMode: 1
; LDSByteSize: 0 bytes/workgroup (compile time only)
; SGPRBlocks: 4
; VGPRBlocks: 49
; NumSGPRsForWavesPerEU: 36
; NumVGPRsForWavesPerEU: 200
; Occupancy: 1
; WaveLimiterHint : 1
; COMPUTE_PGM_RSRC2:SCRATCH_EN: 0
; COMPUTE_PGM_RSRC2:USER_SGPR: 6
; COMPUTE_PGM_RSRC2:TRAP_HANDLER: 0
; COMPUTE_PGM_RSRC2:TGID_X_EN: 1
; COMPUTE_PGM_RSRC2:TGID_Y_EN: 0
; COMPUTE_PGM_RSRC2:TGID_Z_EN: 0
; COMPUTE_PGM_RSRC2:TIDIG_COMP_CNT: 0
	.type	__hip_cuid_65147999d74182c7,@object ; @__hip_cuid_65147999d74182c7
	.section	.bss,"aw",@nobits
	.globl	__hip_cuid_65147999d74182c7
__hip_cuid_65147999d74182c7:
	.byte	0                               ; 0x0
	.size	__hip_cuid_65147999d74182c7, 1

	.ident	"AMD clang version 19.0.0git (https://github.com/RadeonOpenCompute/llvm-project roc-6.4.0 25133 c7fe45cf4b819c5991fe208aaa96edf142730f1d)"
	.section	".note.GNU-stack","",@progbits
	.addrsig
	.addrsig_sym __hip_cuid_65147999d74182c7
	.amdgpu_metadata
---
amdhsa.kernels:
  - .args:
      - .actual_access:  read_only
        .address_space:  global
        .offset:         0
        .size:           8
        .value_kind:     global_buffer
      - .offset:         8
        .size:           8
        .value_kind:     by_value
      - .actual_access:  read_only
        .address_space:  global
        .offset:         16
        .size:           8
        .value_kind:     global_buffer
      - .actual_access:  read_only
        .address_space:  global
        .offset:         24
        .size:           8
        .value_kind:     global_buffer
      - .actual_access:  read_only
        .address_space:  global
        .offset:         32
        .size:           8
        .value_kind:     global_buffer
      - .offset:         40
        .size:           8
        .value_kind:     by_value
      - .actual_access:  read_only
        .address_space:  global
        .offset:         48
        .size:           8
        .value_kind:     global_buffer
      - .actual_access:  read_only
        .address_space:  global
        .offset:         56
        .size:           8
        .value_kind:     global_buffer
      - .offset:         64
        .size:           4
        .value_kind:     by_value
      - .actual_access:  read_only
        .address_space:  global
        .offset:         72
        .size:           8
        .value_kind:     global_buffer
      - .actual_access:  read_only
        .address_space:  global
        .offset:         80
        .size:           8
        .value_kind:     global_buffer
      - .actual_access:  read_only
        .address_space:  global
        .offset:         88
        .size:           8
        .value_kind:     global_buffer
      - .actual_access:  write_only
        .address_space:  global
        .offset:         96
        .size:           8
        .value_kind:     global_buffer
    .group_segment_fixed_size: 0
    .kernarg_segment_align: 8
    .kernarg_segment_size: 104
    .language:       OpenCL C
    .language_version:
      - 2
      - 0
    .max_flat_workgroup_size: 85
    .name:           fft_rtc_back_len850_factors_10_5_17_wgs_85_tpt_85_half_op_CI_CI_sbrr_dirReg
    .private_segment_fixed_size: 0
    .sgpr_count:     36
    .sgpr_spill_count: 0
    .symbol:         fft_rtc_back_len850_factors_10_5_17_wgs_85_tpt_85_half_op_CI_CI_sbrr_dirReg.kd
    .uniform_work_group_size: 1
    .uses_dynamic_stack: false
    .vgpr_count:     200
    .vgpr_spill_count: 0
    .wavefront_size: 64
amdhsa.target:   amdgcn-amd-amdhsa--gfx906
amdhsa.version:
  - 1
  - 2
...

	.end_amdgpu_metadata
